;; amdgpu-corpus repo=ROCm/rocFFT kind=compiled arch=gfx906 opt=O3
	.text
	.amdgcn_target "amdgcn-amd-amdhsa--gfx906"
	.amdhsa_code_object_version 6
	.protected	c2r_even_pre_dim3_dp_CP_CI ; -- Begin function c2r_even_pre_dim3_dp_CP_CI
	.globl	c2r_even_pre_dim3_dp_CP_CI
	.p2align	8
	.type	c2r_even_pre_dim3_dp_CP_CI,@function
c2r_even_pre_dim3_dp_CP_CI:             ; @c2r_even_pre_dim3_dp_CP_CI
; %bb.0:
	s_load_dwordx4 s[0:3], s[4:5], 0x0
	s_load_dword s7, s[4:5], 0x10
	s_load_dword s8, s[4:5], 0x7c
	s_waitcnt lgkmcnt(0)
	v_cvt_f32_u32_e32 v1, s0
	v_cvt_f32_u32_e32 v2, s3
	s_sub_i32 s9, 0, s0
	s_and_b32 s8, s8, 0xffff
	v_rcp_iflag_f32_e32 v1, v1
	s_mul_i32 s6, s6, s8
	v_mul_f32_e32 v1, 0x4f7ffffe, v1
	v_cvt_u32_f32_e32 v3, v1
	v_rcp_iflag_f32_e32 v1, v2
	v_mul_lo_u32 v2, s9, v3
	v_mul_f32_e32 v1, 0x4f7ffffe, v1
	v_cvt_u32_f32_e32 v4, v1
	v_add_u32_e32 v1, s6, v0
	v_mul_hi_u32 v2, v3, v2
	s_sub_i32 s9, 0, s3
	v_mul_lo_u32 v0, s9, v4
	v_add_u32_e32 v2, v3, v2
	v_mul_hi_u32 v2, v1, v2
	v_mul_hi_u32 v0, v4, v0
	v_mul_lo_u32 v3, v2, s0
	v_add_u32_e32 v4, v4, v0
	v_add_u32_e32 v0, 1, v2
	v_sub_u32_e32 v3, v1, v3
	v_cmp_le_u32_e32 vcc, s0, v3
	v_cndmask_b32_e32 v0, v2, v0, vcc
	v_subrev_u32_e32 v2, s0, v3
	v_cndmask_b32_e32 v2, v3, v2, vcc
	v_add_u32_e32 v3, 1, v0
	v_cmp_le_u32_e32 vcc, s0, v2
	v_cndmask_b32_e32 v0, v0, v3, vcc
	v_mul_hi_u32 v2, v0, v4
	v_mul_lo_u32 v3, v2, s3
	v_add_u32_e32 v4, 1, v2
	v_sub_u32_e32 v3, v0, v3
	v_cmp_le_u32_e32 vcc, s3, v3
	v_cndmask_b32_e32 v2, v2, v4, vcc
	v_subrev_u32_e32 v4, s3, v3
	v_cndmask_b32_e32 v3, v3, v4, vcc
	v_add_u32_e32 v4, 1, v2
	v_cmp_le_u32_e32 vcc, s3, v3
	v_cndmask_b32_e32 v3, v2, v4, vcc
	v_cmp_gt_u32_e32 vcc, s7, v3
	s_and_saveexec_b64 s[6:7], vcc
	s_cbranch_execz .LBB0_7
; %bb.1:
	v_mul_lo_u32 v2, v0, s0
	s_add_i32 s6, s0, 1
	s_lshr_b32 s6, s6, 1
	v_sub_u32_e32 v2, v1, v2
	v_cmp_gt_u32_e32 vcc, s6, v2
	s_and_b64 exec, exec, vcc
	s_cbranch_execz .LBB0_7
; %bb.2:
	v_mul_lo_u32 v1, v3, s3
	s_load_dword s10, s[4:5], 0x38
	s_load_dwordx2 s[6:7], s[4:5], 0x30
	s_load_dword s3, s[4:5], 0x28
	s_load_dwordx2 s[8:9], s[4:5], 0x18
	v_cmp_ne_u32_e32 vcc, 0, v2
	v_sub_u32_e32 v1, v0, v1
	v_mul_lo_u32 v0, v1, s1
	v_mul_lo_u32 v1, v1, s2
                                        ; implicit-def: $vgpr6_vgpr7
	s_waitcnt lgkmcnt(0)
	v_mad_u64_u32 v[4:5], s[2:3], v3, s3, v[0:1]
	v_mad_u64_u32 v[0:1], s[2:3], v3, s10, v[1:2]
	v_sub_u32_e32 v1, s0, v2
	v_add_u32_e32 v3, v4, v1
	s_and_saveexec_b64 s[0:1], vcc
	s_xor_b64 s[0:1], exec, s[0:1]
	s_cbranch_execz .LBB0_4
; %bb.3:
	s_load_dwordx2 s[2:3], s[4:5], 0x20
	v_add_u32_e32 v12, v4, v2
	v_mov_b32_e32 v13, 0
	v_lshlrev_b64 v[4:5], 3, v[12:13]
	v_mov_b32_e32 v11, s9
	v_add_co_u32_e32 v6, vcc, s8, v4
	v_addc_co_u32_e32 v7, vcc, v11, v5, vcc
	s_waitcnt lgkmcnt(0)
	v_mov_b32_e32 v12, s3
	v_add_co_u32_e32 v4, vcc, s2, v4
	v_addc_co_u32_e32 v5, vcc, v12, v5, vcc
	global_load_dwordx2 v[8:9], v[4:5], off
	v_mov_b32_e32 v4, v13
	v_lshlrev_b64 v[3:4], 3, v[3:4]
	global_load_dwordx2 v[6:7], v[6:7], off
	v_add_co_u32_e32 v10, vcc, s8, v3
	v_addc_co_u32_e32 v11, vcc, v11, v4, vcc
	global_load_dwordx2 v[10:11], v[10:11], off
	v_add_co_u32_e32 v3, vcc, s2, v3
	v_addc_co_u32_e32 v4, vcc, v12, v4, vcc
	global_load_dwordx2 v[4:5], v[3:4], off
	s_load_dwordx2 s[2:3], s[4:5], 0x40
	v_mov_b32_e32 v3, v13
	v_lshlrev_b64 v[14:15], 4, v[2:3]
	v_add_u32_e32 v12, v0, v2
	s_waitcnt lgkmcnt(0)
	v_mov_b32_e32 v3, s3
	v_add_co_u32_e32 v14, vcc, s2, v14
	v_addc_co_u32_e32 v15, vcc, v3, v15, vcc
	s_waitcnt vmcnt(1)
	v_add_f64 v[16:17], v[6:7], v[10:11]
	v_add_f64 v[18:19], v[6:7], -v[10:11]
	s_waitcnt vmcnt(0)
	v_add_f64 v[10:11], v[8:9], v[4:5]
	v_add_f64 v[7:8], v[8:9], -v[4:5]
	global_load_dwordx4 v[3:6], v[14:15], off
	v_lshlrev_b64 v[14:15], 4, v[12:13]
	v_add_u32_e32 v12, v0, v1
	s_waitcnt vmcnt(0)
	v_fma_f64 v[0:1], -v[18:19], v[5:6], v[16:17]
	v_fma_f64 v[16:17], v[18:19], v[5:6], v[16:17]
	v_fma_f64 v[20:21], v[10:11], v[5:6], v[7:8]
	v_fma_f64 v[5:6], v[10:11], v[5:6], -v[7:8]
	v_fma_f64 v[0:1], v[10:11], v[3:4], v[0:1]
	v_fma_f64 v[8:9], -v[10:11], v[3:4], v[16:17]
	v_fma_f64 v[10:11], v[18:19], v[3:4], v[20:21]
	v_mov_b32_e32 v16, s7
	v_fma_f64 v[6:7], v[18:19], v[3:4], v[5:6]
	v_lshlrev_b64 v[2:3], 4, v[12:13]
	v_add_co_u32_e32 v4, vcc, s6, v14
	v_addc_co_u32_e32 v5, vcc, v16, v15, vcc
	v_add_co_u32_e32 v2, vcc, s6, v2
	v_addc_co_u32_e32 v3, vcc, v16, v3, vcc
	global_store_dwordx4 v[4:5], v[8:11], off
	global_store_dwordx2 v[2:3], v[0:1], off
	v_mov_b32_e32 v0, v12
	v_mov_b32_e32 v1, v13
                                        ; implicit-def: $vgpr4_vgpr5
                                        ; implicit-def: $vgpr3
.LBB0_4:
	s_andn2_saveexec_b64 s[0:1], s[0:1]
	s_cbranch_execz .LBB0_6
; %bb.5:
	v_mov_b32_e32 v5, 0
	v_lshlrev_b64 v[1:2], 3, v[4:5]
	v_mov_b32_e32 v4, v5
	v_mov_b32_e32 v6, s9
	v_add_co_u32_e32 v1, vcc, s8, v1
	v_lshlrev_b64 v[3:4], 3, v[3:4]
	v_addc_co_u32_e32 v2, vcc, v6, v2, vcc
	v_add_co_u32_e32 v3, vcc, s8, v3
	v_addc_co_u32_e32 v4, vcc, v6, v4, vcc
	global_load_dwordx2 v[6:7], v[1:2], off
	global_load_dwordx2 v[8:9], v[3:4], off
	v_mov_b32_e32 v1, v5
	v_lshlrev_b64 v[4:5], 4, v[0:1]
	v_add_co_u32_e32 v4, vcc, s6, v4
	s_waitcnt vmcnt(0)
	v_add_f64 v[2:3], v[6:7], v[8:9]
	v_add_f64 v[6:7], v[6:7], -v[8:9]
	v_mov_b32_e32 v8, s7
	v_addc_co_u32_e32 v5, vcc, v8, v5, vcc
	global_store_dwordx2 v[4:5], v[2:3], off
.LBB0_6:
	s_or_b64 exec, exec, s[0:1]
	v_lshlrev_b64 v[0:1], 4, v[0:1]
	v_mov_b32_e32 v2, s7
	v_add_co_u32_e32 v0, vcc, s6, v0
	v_addc_co_u32_e32 v1, vcc, v2, v1, vcc
	global_store_dwordx2 v[0:1], v[6:7], off offset:8
.LBB0_7:
	s_endpgm
	.section	.rodata,"a",@progbits
	.p2align	6, 0x0
	.amdhsa_kernel c2r_even_pre_dim3_dp_CP_CI
		.amdhsa_group_segment_fixed_size 0
		.amdhsa_private_segment_fixed_size 0
		.amdhsa_kernarg_size 368
		.amdhsa_user_sgpr_count 6
		.amdhsa_user_sgpr_private_segment_buffer 1
		.amdhsa_user_sgpr_dispatch_ptr 0
		.amdhsa_user_sgpr_queue_ptr 0
		.amdhsa_user_sgpr_kernarg_segment_ptr 1
		.amdhsa_user_sgpr_dispatch_id 0
		.amdhsa_user_sgpr_flat_scratch_init 0
		.amdhsa_user_sgpr_private_segment_size 0
		.amdhsa_uses_dynamic_stack 0
		.amdhsa_system_sgpr_private_segment_wavefront_offset 0
		.amdhsa_system_sgpr_workgroup_id_x 1
		.amdhsa_system_sgpr_workgroup_id_y 0
		.amdhsa_system_sgpr_workgroup_id_z 0
		.amdhsa_system_sgpr_workgroup_info 0
		.amdhsa_system_vgpr_workitem_id 0
		.amdhsa_next_free_vgpr 22
		.amdhsa_next_free_sgpr 11
		.amdhsa_reserve_vcc 1
		.amdhsa_reserve_flat_scratch 0
		.amdhsa_float_round_mode_32 0
		.amdhsa_float_round_mode_16_64 0
		.amdhsa_float_denorm_mode_32 3
		.amdhsa_float_denorm_mode_16_64 3
		.amdhsa_dx10_clamp 1
		.amdhsa_ieee_mode 1
		.amdhsa_fp16_overflow 0
		.amdhsa_exception_fp_ieee_invalid_op 0
		.amdhsa_exception_fp_denorm_src 0
		.amdhsa_exception_fp_ieee_div_zero 0
		.amdhsa_exception_fp_ieee_overflow 0
		.amdhsa_exception_fp_ieee_underflow 0
		.amdhsa_exception_fp_ieee_inexact 0
		.amdhsa_exception_int_div_zero 0
	.end_amdhsa_kernel
	.text
.Lfunc_end0:
	.size	c2r_even_pre_dim3_dp_CP_CI, .Lfunc_end0-c2r_even_pre_dim3_dp_CP_CI
                                        ; -- End function
	.section	.AMDGPU.csdata,"",@progbits
; Kernel info:
; codeLenInByte = 872
; NumSgprs: 15
; NumVgprs: 22
; ScratchSize: 0
; MemoryBound: 0
; FloatMode: 240
; IeeeMode: 1
; LDSByteSize: 0 bytes/workgroup (compile time only)
; SGPRBlocks: 1
; VGPRBlocks: 5
; NumSGPRsForWavesPerEU: 15
; NumVGPRsForWavesPerEU: 22
; Occupancy: 10
; WaveLimiterHint : 0
; COMPUTE_PGM_RSRC2:SCRATCH_EN: 0
; COMPUTE_PGM_RSRC2:USER_SGPR: 6
; COMPUTE_PGM_RSRC2:TRAP_HANDLER: 0
; COMPUTE_PGM_RSRC2:TGID_X_EN: 1
; COMPUTE_PGM_RSRC2:TGID_Y_EN: 0
; COMPUTE_PGM_RSRC2:TGID_Z_EN: 0
; COMPUTE_PGM_RSRC2:TIDIG_COMP_CNT: 0
	.type	__hip_cuid_f3226d0b2b534d8e,@object ; @__hip_cuid_f3226d0b2b534d8e
	.section	.bss,"aw",@nobits
	.globl	__hip_cuid_f3226d0b2b534d8e
__hip_cuid_f3226d0b2b534d8e:
	.byte	0                               ; 0x0
	.size	__hip_cuid_f3226d0b2b534d8e, 1

	.ident	"AMD clang version 19.0.0git (https://github.com/RadeonOpenCompute/llvm-project roc-6.4.0 25133 c7fe45cf4b819c5991fe208aaa96edf142730f1d)"
	.section	".note.GNU-stack","",@progbits
	.addrsig
	.addrsig_sym __hip_cuid_f3226d0b2b534d8e
	.amdgpu_metadata
---
amdhsa.kernels:
  - .args:
      - .offset:         0
        .size:           4
        .value_kind:     by_value
      - .offset:         4
        .size:           4
        .value_kind:     by_value
      - .offset:         8
        .size:           4
        .value_kind:     by_value
      - .offset:         12
        .size:           4
        .value_kind:     by_value
      - .offset:         16
        .size:           4
        .value_kind:     by_value
      - .actual_access:  read_only
        .address_space:  global
        .offset:         24
        .size:           8
        .value_kind:     global_buffer
      - .actual_access:  read_only
        .address_space:  global
        .offset:         32
        .size:           8
        .value_kind:     global_buffer
      - .offset:         40
        .size:           4
        .value_kind:     by_value
      - .actual_access:  write_only
        .address_space:  global
        .offset:         48
        .size:           8
        .value_kind:     global_buffer
      - .offset:         56
        .size:           4
        .value_kind:     by_value
      - .actual_access:  read_only
        .address_space:  global
        .offset:         64
        .size:           8
        .value_kind:     global_buffer
      - .actual_access:  read_only
        .address_space:  global
        .offset:         72
        .size:           8
        .value_kind:     global_buffer
      - .actual_access:  read_only
        .address_space:  global
        .offset:         80
        .size:           8
        .value_kind:     global_buffer
      - .offset:         88
        .size:           4
        .value_kind:     by_value
      - .actual_access:  read_only
        .address_space:  global
        .offset:         96
        .size:           8
        .value_kind:     global_buffer
      - .actual_access:  read_only
        .address_space:  global
        .offset:         104
        .size:           8
        .value_kind:     global_buffer
      - .offset:         112
        .size:           4
        .value_kind:     hidden_block_count_x
      - .offset:         116
        .size:           4
        .value_kind:     hidden_block_count_y
      - .offset:         120
        .size:           4
        .value_kind:     hidden_block_count_z
      - .offset:         124
        .size:           2
        .value_kind:     hidden_group_size_x
      - .offset:         126
        .size:           2
        .value_kind:     hidden_group_size_y
      - .offset:         128
        .size:           2
        .value_kind:     hidden_group_size_z
      - .offset:         130
        .size:           2
        .value_kind:     hidden_remainder_x
      - .offset:         132
        .size:           2
        .value_kind:     hidden_remainder_y
      - .offset:         134
        .size:           2
        .value_kind:     hidden_remainder_z
      - .offset:         152
        .size:           8
        .value_kind:     hidden_global_offset_x
      - .offset:         160
        .size:           8
        .value_kind:     hidden_global_offset_y
      - .offset:         168
        .size:           8
        .value_kind:     hidden_global_offset_z
      - .offset:         176
        .size:           2
        .value_kind:     hidden_grid_dims
    .group_segment_fixed_size: 0
    .kernarg_segment_align: 8
    .kernarg_segment_size: 368
    .language:       OpenCL C
    .language_version:
      - 2
      - 0
    .max_flat_workgroup_size: 256
    .name:           c2r_even_pre_dim3_dp_CP_CI
    .private_segment_fixed_size: 0
    .sgpr_count:     15
    .sgpr_spill_count: 0
    .symbol:         c2r_even_pre_dim3_dp_CP_CI.kd
    .uniform_work_group_size: 1
    .uses_dynamic_stack: false
    .vgpr_count:     22
    .vgpr_spill_count: 0
    .wavefront_size: 64
amdhsa.target:   amdgcn-amd-amdhsa--gfx906
amdhsa.version:
  - 1
  - 2
...

	.end_amdgpu_metadata
